;; amdgpu-corpus repo=ROCm/rocFFT kind=compiled arch=gfx1030 opt=O3
	.text
	.amdgcn_target "amdgcn-amd-amdhsa--gfx1030"
	.amdhsa_code_object_version 6
	.protected	fft_rtc_fwd_len3888_factors_16_3_3_3_3_3_wgs_324_tpt_324_halfLds_sp_ip_CI_unitstride_sbrr_R2C_dirReg ; -- Begin function fft_rtc_fwd_len3888_factors_16_3_3_3_3_3_wgs_324_tpt_324_halfLds_sp_ip_CI_unitstride_sbrr_R2C_dirReg
	.globl	fft_rtc_fwd_len3888_factors_16_3_3_3_3_3_wgs_324_tpt_324_halfLds_sp_ip_CI_unitstride_sbrr_R2C_dirReg
	.p2align	8
	.type	fft_rtc_fwd_len3888_factors_16_3_3_3_3_3_wgs_324_tpt_324_halfLds_sp_ip_CI_unitstride_sbrr_R2C_dirReg,@function
fft_rtc_fwd_len3888_factors_16_3_3_3_3_3_wgs_324_tpt_324_halfLds_sp_ip_CI_unitstride_sbrr_R2C_dirReg: ; @fft_rtc_fwd_len3888_factors_16_3_3_3_3_3_wgs_324_tpt_324_halfLds_sp_ip_CI_unitstride_sbrr_R2C_dirReg
; %bb.0:
	s_clause 0x2
	s_load_dwordx4 s[8:11], s[4:5], 0x0
	s_load_dwordx2 s[2:3], s[4:5], 0x50
	s_load_dwordx2 s[12:13], s[4:5], 0x18
	v_mul_u32_u24_e32 v1, 0x195, v0
	v_mov_b32_e32 v3, 0
	v_lshrrev_b32_e32 v1, 17, v1
	v_mov_b32_e32 v6, v3
	v_add_nc_u32_e32 v5, s6, v1
	v_mov_b32_e32 v1, 0
	v_mov_b32_e32 v2, 0
	s_waitcnt lgkmcnt(0)
	v_cmp_lt_u64_e64 s0, s[10:11], 2
	s_and_b32 vcc_lo, exec_lo, s0
	s_cbranch_vccnz .LBB0_8
; %bb.1:
	s_load_dwordx2 s[0:1], s[4:5], 0x10
	v_mov_b32_e32 v1, 0
	s_add_u32 s6, s12, 8
	v_mov_b32_e32 v2, 0
	s_addc_u32 s7, s13, 0
	s_mov_b64 s[16:17], 1
	s_waitcnt lgkmcnt(0)
	s_add_u32 s14, s0, 8
	s_addc_u32 s15, s1, 0
.LBB0_2:                                ; =>This Inner Loop Header: Depth=1
	s_load_dwordx2 s[18:19], s[14:15], 0x0
                                        ; implicit-def: $vgpr7_vgpr8
	s_mov_b32 s0, exec_lo
	s_waitcnt lgkmcnt(0)
	v_or_b32_e32 v4, s19, v6
	v_cmpx_ne_u64_e32 0, v[3:4]
	s_xor_b32 s1, exec_lo, s0
	s_cbranch_execz .LBB0_4
; %bb.3:                                ;   in Loop: Header=BB0_2 Depth=1
	v_cvt_f32_u32_e32 v4, s18
	v_cvt_f32_u32_e32 v7, s19
	s_sub_u32 s0, 0, s18
	s_subb_u32 s20, 0, s19
	v_fmac_f32_e32 v4, 0x4f800000, v7
	v_rcp_f32_e32 v4, v4
	v_mul_f32_e32 v4, 0x5f7ffffc, v4
	v_mul_f32_e32 v7, 0x2f800000, v4
	v_trunc_f32_e32 v7, v7
	v_fmac_f32_e32 v4, 0xcf800000, v7
	v_cvt_u32_f32_e32 v7, v7
	v_cvt_u32_f32_e32 v4, v4
	v_mul_lo_u32 v8, s0, v7
	v_mul_hi_u32 v9, s0, v4
	v_mul_lo_u32 v10, s20, v4
	v_add_nc_u32_e32 v8, v9, v8
	v_mul_lo_u32 v9, s0, v4
	v_add_nc_u32_e32 v8, v8, v10
	v_mul_hi_u32 v10, v4, v9
	v_mul_lo_u32 v11, v4, v8
	v_mul_hi_u32 v12, v4, v8
	v_mul_hi_u32 v13, v7, v9
	v_mul_lo_u32 v9, v7, v9
	v_mul_hi_u32 v14, v7, v8
	v_mul_lo_u32 v8, v7, v8
	v_add_co_u32 v10, vcc_lo, v10, v11
	v_add_co_ci_u32_e32 v11, vcc_lo, 0, v12, vcc_lo
	v_add_co_u32 v9, vcc_lo, v10, v9
	v_add_co_ci_u32_e32 v9, vcc_lo, v11, v13, vcc_lo
	v_add_co_ci_u32_e32 v10, vcc_lo, 0, v14, vcc_lo
	v_add_co_u32 v8, vcc_lo, v9, v8
	v_add_co_ci_u32_e32 v9, vcc_lo, 0, v10, vcc_lo
	v_add_co_u32 v4, vcc_lo, v4, v8
	v_add_co_ci_u32_e32 v7, vcc_lo, v7, v9, vcc_lo
	v_mul_hi_u32 v8, s0, v4
	v_mul_lo_u32 v10, s20, v4
	v_mul_lo_u32 v9, s0, v7
	v_add_nc_u32_e32 v8, v8, v9
	v_mul_lo_u32 v9, s0, v4
	v_add_nc_u32_e32 v8, v8, v10
	v_mul_hi_u32 v10, v4, v9
	v_mul_lo_u32 v11, v4, v8
	v_mul_hi_u32 v12, v4, v8
	v_mul_hi_u32 v13, v7, v9
	v_mul_lo_u32 v9, v7, v9
	v_mul_hi_u32 v14, v7, v8
	v_mul_lo_u32 v8, v7, v8
	v_add_co_u32 v10, vcc_lo, v10, v11
	v_add_co_ci_u32_e32 v11, vcc_lo, 0, v12, vcc_lo
	v_add_co_u32 v9, vcc_lo, v10, v9
	v_add_co_ci_u32_e32 v9, vcc_lo, v11, v13, vcc_lo
	v_add_co_ci_u32_e32 v10, vcc_lo, 0, v14, vcc_lo
	v_add_co_u32 v8, vcc_lo, v9, v8
	v_add_co_ci_u32_e32 v9, vcc_lo, 0, v10, vcc_lo
	v_add_co_u32 v4, vcc_lo, v4, v8
	v_add_co_ci_u32_e32 v11, vcc_lo, v7, v9, vcc_lo
	v_mul_hi_u32 v13, v5, v4
	v_mad_u64_u32 v[9:10], null, v6, v4, 0
	v_mad_u64_u32 v[7:8], null, v5, v11, 0
	;; [unrolled: 1-line block ×3, first 2 shown]
	v_add_co_u32 v4, vcc_lo, v13, v7
	v_add_co_ci_u32_e32 v7, vcc_lo, 0, v8, vcc_lo
	v_add_co_u32 v4, vcc_lo, v4, v9
	v_add_co_ci_u32_e32 v4, vcc_lo, v7, v10, vcc_lo
	v_add_co_ci_u32_e32 v7, vcc_lo, 0, v12, vcc_lo
	v_add_co_u32 v4, vcc_lo, v4, v11
	v_add_co_ci_u32_e32 v9, vcc_lo, 0, v7, vcc_lo
	v_mul_lo_u32 v10, s19, v4
	v_mad_u64_u32 v[7:8], null, s18, v4, 0
	v_mul_lo_u32 v11, s18, v9
	v_sub_co_u32 v7, vcc_lo, v5, v7
	v_add3_u32 v8, v8, v11, v10
	v_sub_nc_u32_e32 v10, v6, v8
	v_subrev_co_ci_u32_e64 v10, s0, s19, v10, vcc_lo
	v_add_co_u32 v11, s0, v4, 2
	v_add_co_ci_u32_e64 v12, s0, 0, v9, s0
	v_sub_co_u32 v13, s0, v7, s18
	v_sub_co_ci_u32_e32 v8, vcc_lo, v6, v8, vcc_lo
	v_subrev_co_ci_u32_e64 v10, s0, 0, v10, s0
	v_cmp_le_u32_e32 vcc_lo, s18, v13
	v_cmp_eq_u32_e64 s0, s19, v8
	v_cndmask_b32_e64 v13, 0, -1, vcc_lo
	v_cmp_le_u32_e32 vcc_lo, s19, v10
	v_cndmask_b32_e64 v14, 0, -1, vcc_lo
	v_cmp_le_u32_e32 vcc_lo, s18, v7
	;; [unrolled: 2-line block ×3, first 2 shown]
	v_cndmask_b32_e64 v15, 0, -1, vcc_lo
	v_cmp_eq_u32_e32 vcc_lo, s19, v10
	v_cndmask_b32_e64 v7, v15, v7, s0
	v_cndmask_b32_e32 v10, v14, v13, vcc_lo
	v_add_co_u32 v13, vcc_lo, v4, 1
	v_add_co_ci_u32_e32 v14, vcc_lo, 0, v9, vcc_lo
	v_cmp_ne_u32_e32 vcc_lo, 0, v10
	v_cndmask_b32_e32 v8, v14, v12, vcc_lo
	v_cndmask_b32_e32 v10, v13, v11, vcc_lo
	v_cmp_ne_u32_e32 vcc_lo, 0, v7
	v_cndmask_b32_e32 v8, v9, v8, vcc_lo
	v_cndmask_b32_e32 v7, v4, v10, vcc_lo
.LBB0_4:                                ;   in Loop: Header=BB0_2 Depth=1
	s_andn2_saveexec_b32 s0, s1
	s_cbranch_execz .LBB0_6
; %bb.5:                                ;   in Loop: Header=BB0_2 Depth=1
	v_cvt_f32_u32_e32 v4, s18
	s_sub_i32 s1, 0, s18
	v_rcp_iflag_f32_e32 v4, v4
	v_mul_f32_e32 v4, 0x4f7ffffe, v4
	v_cvt_u32_f32_e32 v4, v4
	v_mul_lo_u32 v7, s1, v4
	v_mul_hi_u32 v7, v4, v7
	v_add_nc_u32_e32 v4, v4, v7
	v_mul_hi_u32 v4, v5, v4
	v_mul_lo_u32 v7, v4, s18
	v_add_nc_u32_e32 v8, 1, v4
	v_sub_nc_u32_e32 v7, v5, v7
	v_subrev_nc_u32_e32 v9, s18, v7
	v_cmp_le_u32_e32 vcc_lo, s18, v7
	v_cndmask_b32_e32 v7, v7, v9, vcc_lo
	v_cndmask_b32_e32 v4, v4, v8, vcc_lo
	v_cmp_le_u32_e32 vcc_lo, s18, v7
	v_add_nc_u32_e32 v8, 1, v4
	v_cndmask_b32_e32 v7, v4, v8, vcc_lo
	v_mov_b32_e32 v8, v3
.LBB0_6:                                ;   in Loop: Header=BB0_2 Depth=1
	s_or_b32 exec_lo, exec_lo, s0
	s_load_dwordx2 s[0:1], s[6:7], 0x0
	v_mul_lo_u32 v4, v8, s18
	v_mul_lo_u32 v11, v7, s19
	v_mad_u64_u32 v[9:10], null, v7, s18, 0
	s_add_u32 s16, s16, 1
	s_addc_u32 s17, s17, 0
	s_add_u32 s6, s6, 8
	s_addc_u32 s7, s7, 0
	;; [unrolled: 2-line block ×3, first 2 shown]
	v_add3_u32 v4, v10, v11, v4
	v_sub_co_u32 v5, vcc_lo, v5, v9
	v_sub_co_ci_u32_e32 v4, vcc_lo, v6, v4, vcc_lo
	s_waitcnt lgkmcnt(0)
	v_mul_lo_u32 v6, s1, v5
	v_mul_lo_u32 v4, s0, v4
	v_mad_u64_u32 v[1:2], null, s0, v5, v[1:2]
	v_cmp_ge_u64_e64 s0, s[16:17], s[10:11]
	s_and_b32 vcc_lo, exec_lo, s0
	v_add3_u32 v2, v6, v2, v4
	s_cbranch_vccnz .LBB0_9
; %bb.7:                                ;   in Loop: Header=BB0_2 Depth=1
	v_mov_b32_e32 v5, v7
	v_mov_b32_e32 v6, v8
	s_branch .LBB0_2
.LBB0_8:
	v_mov_b32_e32 v8, v6
	v_mov_b32_e32 v7, v5
.LBB0_9:
	s_lshl_b64 s[0:1], s[10:11], 3
	v_mul_hi_u32_u24_e32 v3, 0xca4588, v0
	s_add_u32 s0, s12, s0
	s_addc_u32 s1, s13, s1
	s_load_dwordx2 s[0:1], s[0:1], 0x0
	s_load_dwordx2 s[4:5], s[4:5], 0x20
	v_mul_u32_u24_e32 v3, 0x144, v3
	v_sub_nc_u32_e32 v32, v0, v3
	v_lshl_add_u32 v36, v32, 3, 0
	s_waitcnt lgkmcnt(0)
	v_mul_lo_u32 v4, s0, v8
	v_mul_lo_u32 v5, s1, v7
	v_mad_u64_u32 v[1:2], null, s0, v7, v[1:2]
	v_cmp_gt_u64_e32 vcc_lo, s[4:5], v[7:8]
	v_add3_u32 v2, v5, v2, v4
	v_lshlrev_b64 v[34:35], 3, v[1:2]
	s_and_saveexec_b32 s1, vcc_lo
	s_cbranch_execz .LBB0_11
; %bb.10:
	v_mov_b32_e32 v33, 0
	v_add_co_u32 v2, s0, s2, v34
	v_add_co_ci_u32_e64 v3, s0, s3, v35, s0
	v_lshlrev_b64 v[0:1], 3, v[32:33]
	v_add_co_u32 v0, s0, v2, v0
	v_add_co_ci_u32_e64 v1, s0, v3, v1, s0
	v_add_co_u32 v2, s0, 0x800, v0
	v_add_co_ci_u32_e64 v3, s0, 0, v1, s0
	;; [unrolled: 2-line block ×11, first 2 shown]
	s_clause 0x3
	global_load_dwordx2 v[8:9], v[0:1], off
	global_load_dwordx2 v[2:3], v[2:3], off offset:544
	global_load_dwordx2 v[4:5], v[4:5], off offset:1088
	;; [unrolled: 1-line block ×3, first 2 shown]
	v_add_co_u32 v0, s0, 0x6800, v0
	v_add_co_ci_u32_e64 v1, s0, 0, v1, s0
	s_clause 0x7
	global_load_dwordx2 v[10:11], v[10:11], off offset:128
	global_load_dwordx2 v[12:13], v[12:13], off offset:672
	;; [unrolled: 1-line block ×8, first 2 shown]
	s_waitcnt vmcnt(11)
	ds_write_b64 v36, v[8:9]
	s_waitcnt vmcnt(10)
	ds_write_b64 v36, v[2:3] offset:2592
	s_waitcnt vmcnt(9)
	ds_write_b64 v36, v[4:5] offset:5184
	;; [unrolled: 2-line block ×11, first 2 shown]
.LBB0_11:
	s_or_b32 exec_lo, exec_lo, s1
	v_add_nc_u32_e32 v12, 0x2d80, v36
	v_add_nc_u32_e32 v0, 0xf00, v36
	v_add_nc_u32_e32 v16, 0x3c80, v36
	v_add_nc_u32_e32 v8, 0x1e00, v36
	v_add_nc_u32_e32 v20, 0x4bc0, v36
	v_add_nc_u32_e32 v21, 0x5b00, v36
	v_add_nc_u32_e32 v24, 0x6a00, v36
	s_waitcnt lgkmcnt(0)
	s_barrier
	buffer_gl0_inv
	ds_read2_b64 v[4:7], v36 offset1:243
	ds_read2_b64 v[0:3], v0 offset0:6 offset1:249
	ds_read2_b64 v[8:11], v8 offset0:12 offset1:255
	;; [unrolled: 1-line block ×7, first 2 shown]
	s_mov_b32 s1, exec_lo
	s_waitcnt lgkmcnt(0)
	s_barrier
	buffer_gl0_inv
	v_cmpx_gt_u32_e32 0xf3, v32
	s_cbranch_execz .LBB0_13
; %bb.12:
	v_sub_f32_e32 v17, v5, v17
	v_sub_f32_e32 v21, v9, v21
	;; [unrolled: 1-line block ×16, first 2 shown]
	v_fma_f32 v5, v5, 2.0, -v17
	v_fma_f32 v9, v9, 2.0, -v21
	v_add_f32_e32 v33, v29, v24
	v_add_f32_e32 v37, v17, v20
	;; [unrolled: 1-line block ×4, first 2 shown]
	v_sub_f32_e32 v40, v28, v25
	v_sub_f32_e32 v42, v30, v27
	;; [unrolled: 1-line block ×4, first 2 shown]
	v_fma_f32 v0, v0, 2.0, -v28
	v_fma_f32 v24, v12, 2.0, -v24
	v_sub_f32_e32 v47, v5, v9
	v_fma_f32 v9, v6, 2.0, -v18
	v_fma_f32 v48, v2, 2.0, -v30
	;; [unrolled: 1-line block ×5, first 2 shown]
	v_fmamk_f32 v41, v33, 0x3f3504f3, v37
	v_fmamk_f32 v44, v38, 0x3f3504f3, v39
	;; [unrolled: 1-line block ×4, first 2 shown]
	v_sub_f32_e32 v24, v0, v24
	v_fma_f32 v7, v10, 2.0, -v22
	v_fma_f32 v22, v3, 2.0, -v31
	v_fma_f32 v3, v15, 2.0, -v27
	v_sub_f32_e32 v10, v48, v2
	v_sub_f32_e32 v15, v26, v6
	v_fmac_f32_e32 v41, 0x3f3504f3, v40
	v_fmac_f32_e32 v44, 0x3f3504f3, v42
	;; [unrolled: 1-line block ×4, first 2 shown]
	v_add_f32_e32 v23, v47, v24
	v_sub_f32_e32 v27, v9, v7
	v_sub_f32_e32 v49, v22, v3
	v_add_f32_e32 v50, v15, v10
	v_fma_f32 v14, v4, 2.0, -v16
	v_fma_f32 v3, v8, 2.0, -v20
	;; [unrolled: 1-line block ×6, first 2 shown]
	v_fmamk_f32 v12, v44, 0x3f6c835e, v41
	v_fmamk_f32 v11, v45, 0x3f6c835e, v21
	v_sub_f32_e32 v51, v27, v49
	v_fmamk_f32 v2, v50, 0x3f3504f3, v23
	v_sub_f32_e32 v52, v14, v3
	v_fma_f32 v3, v28, 2.0, -v40
	v_fma_f32 v28, v16, 2.0, -v46
	;; [unrolled: 1-line block ×6, first 2 shown]
	v_fmamk_f32 v29, v6, 0xbf3504f3, v17
	v_fmamk_f32 v31, v8, 0xbf3504f3, v19
	v_fmac_f32_e32 v12, 0x3ec3ef15, v45
	v_fmac_f32_e32 v11, 0xbec3ef15, v44
	;; [unrolled: 1-line block ×3, first 2 shown]
	v_fmamk_f32 v33, v3, 0xbf3504f3, v28
	v_fma_f32 v0, v0, 2.0, -v24
	v_fma_f32 v24, v37, 2.0, -v41
	;; [unrolled: 1-line block ×3, first 2 shown]
	v_sub_f32_e32 v13, v20, v1
	v_fmamk_f32 v30, v7, 0xbf3504f3, v25
	v_fmac_f32_e32 v29, 0x3f3504f3, v3
	v_fmac_f32_e32 v31, 0x3f3504f3, v7
	v_fma_f32 v4, v41, 2.0, -v12
	v_fmac_f32_e32 v33, 0xbf3504f3, v6
	v_fma_f32 v3, v21, 2.0, -v11
	v_fma_f32 v6, v23, 2.0, -v2
	;; [unrolled: 1-line block ×3, first 2 shown]
	v_fmamk_f32 v16, v37, 0xbec3ef15, v24
	v_fma_f32 v21, v46, 2.0, -v21
	v_fma_f32 v23, v47, 2.0, -v23
	;; [unrolled: 1-line block ×3, first 2 shown]
	v_sub_f32_e32 v40, v52, v13
	v_fmac_f32_e32 v30, 0xbf3504f3, v8
	v_fmamk_f32 v8, v31, 0x3ec3ef15, v29
	v_fma_f32 v5, v5, 2.0, -v47
	v_fma_f32 v13, v20, 2.0, -v13
	v_fma_f32 v38, v9, 2.0, -v27
	v_fma_f32 v39, v26, 2.0, -v15
	v_fmac_f32_e32 v16, 0x3f6c835e, v18
	v_fmamk_f32 v15, v18, 0xbec3ef15, v21
	v_fma_f32 v27, v27, 2.0, -v51
	v_fmamk_f32 v18, v41, 0xbf3504f3, v23
	v_fmamk_f32 v7, v30, 0x3ec3ef15, v33
	v_fma_f32 v9, v48, 2.0, -v10
	v_fmac_f32_e32 v8, 0x3f6c835e, v30
	v_sub_f32_e32 v42, v5, v13
	v_fma_f32 v53, v14, 2.0, -v52
	v_fma_f32 v13, v22, 2.0, -v49
	v_fmac_f32_e32 v18, 0x3f3504f3, v27
	v_fmac_f32_e32 v7, 0xbf6c835e, v31
	v_sub_f32_e32 v48, v38, v9
	v_fma_f32 v10, v29, 2.0, -v8
	v_sub_f32_e32 v0, v53, v0
	v_sub_f32_e32 v43, v39, v13
	v_fma_f32 v29, v17, 2.0, -v29
	v_fma_f32 v30, v25, 2.0, -v30
	;; [unrolled: 1-line block ×8, first 2 shown]
	v_fmac_f32_e32 v15, 0xbf6c835e, v37
	v_fmamk_f32 v26, v19, 0xbf6c835e, v29
	v_fmamk_f32 v25, v30, 0xbf6c835e, v31
	v_fma_f32 v5, v5, 2.0, -v42
	v_fma_f32 v28, v39, 2.0, -v43
	;; [unrolled: 1-line block ×4, first 2 shown]
	v_fmamk_f32 v17, v27, 0xbf3504f3, v23
	v_fmamk_f32 v1, v51, 0x3f3504f3, v40
	v_fmac_f32_e32 v26, 0x3ec3ef15, v30
	v_fmac_f32_e32 v25, 0xbec3ef15, v19
	v_sub_f32_e32 v28, v5, v28
	v_sub_f32_e32 v27, v33, v37
	v_fmac_f32_e32 v17, 0xbf3504f3, v41
	v_add_f32_e32 v14, v42, v48
	v_sub_f32_e32 v13, v0, v43
	v_fmac_f32_e32 v1, 0xbf3504f3, v50
	v_fma_f32 v30, v29, 2.0, -v26
	v_fma_f32 v29, v31, 2.0, -v25
	;; [unrolled: 1-line block ×4, first 2 shown]
	v_mad_u32_u24 v31, 0x78, v32, v36
	v_fma_f32 v21, v21, 2.0, -v15
	v_fma_f32 v23, v23, 2.0, -v17
	;; [unrolled: 1-line block ×5, first 2 shown]
	ds_write2_b64 v31, v[37:38], v[29:30] offset1:1
	ds_write2_b64 v31, v[23:24], v[21:22] offset0:2 offset1:3
	ds_write2_b64 v31, v[19:20], v[9:10] offset0:4 offset1:5
	;; [unrolled: 1-line block ×7, first 2 shown]
.LBB0_13:
	s_or_b32 exec_lo, exec_lo, s1
	v_and_b32_e32 v33, 15, v32
	s_waitcnt lgkmcnt(0)
	s_barrier
	buffer_gl0_inv
	v_add_nc_u32_e32 v3, 0x288, v32
	v_lshlrev_b32_e32 v0, 4, v33
	v_add_nc_u32_e32 v2, 0x3cc, v32
	v_add_nc_u32_e32 v47, 0x3c00, v36
	v_lshrrev_b32_e32 v52, 4, v32
	v_and_b32_e32 v50, 15, v3
	global_load_dwordx4 v[4:7], v0, s[8:9]
	v_add_nc_u32_e32 v0, 0x144, v32
	v_and_b32_e32 v51, 15, v2
	v_mov_b32_e32 v53, 0xaaab
	v_mul_u32_u24_e32 v52, 48, v52
	v_cmp_gt_u32_e64 s0, 0x6c, v32
	v_and_b32_e32 v49, 15, v0
	s_add_u32 s1, s8, 0x7900
	s_addc_u32 s4, s9, 0
	v_or_b32_e32 v33, v52, v33
	s_mov_b32 s5, exec_lo
	v_lshlrev_b32_e32 v1, 4, v49
	v_lshl_add_u32 v33, v33, 3, 0
	global_load_dwordx4 v[8:11], v1, s[8:9]
	v_lshlrev_b32_e32 v1, 4, v50
	global_load_dwordx4 v[12:15], v1, s[8:9]
	v_lshlrev_b32_e32 v1, 4, v51
	global_load_dwordx4 v[16:19], v1, s[8:9]
	ds_read_b64 v[20:21], v36 offset:10368
	ds_read_b64 v[22:23], v36 offset:20736
	;; [unrolled: 1-line block ×3, first 2 shown]
	ds_read_b64 v[26:27], v36
	ds_read_b64 v[28:29], v36 offset:2592
	ds_read_b64 v[30:31], v36 offset:5184
	;; [unrolled: 1-line block ×7, first 2 shown]
	ds_read2_b32 v[47:48], v47 offset0:48 offset1:49
	v_mov_b32_e32 v1, 4
	s_waitcnt vmcnt(0) lgkmcnt(0)
	s_barrier
	buffer_gl0_inv
	v_mul_f32_e32 v54, v5, v21
	v_mul_f32_e32 v5, v5, v20
	;; [unrolled: 1-line block ×4, first 2 shown]
	v_fma_f32 v20, v4, v20, -v54
	v_fmac_f32_e32 v5, v4, v21
	v_lshrrev_b32_e32 v4, 4, v0
	v_fma_f32 v22, v6, v22, -v55
	v_fmac_f32_e32 v7, v6, v23
	v_lshrrev_b32_e32 v6, 4, v2
	v_lshrrev_b32_e32 v21, 4, v3
	v_mul_u32_u24_e32 v4, 48, v4
	v_mul_u32_u24_sdwa v23, v32, v53 dst_sel:DWORD dst_unused:UNUSED_PAD src0_sel:WORD_0 src1_sel:DWORD
	v_mul_u32_u24_sdwa v54, v0, v53 dst_sel:DWORD dst_unused:UNUSED_PAD src0_sel:WORD_0 src1_sel:DWORD
	v_mul_u32_u24_e32 v6, 48, v6
	v_mul_u32_u24_e32 v21, 48, v21
	v_or_b32_e32 v4, v4, v49
	v_lshrrev_b32_e32 v23, 21, v23
	v_mul_u32_u24_sdwa v55, v3, v53 dst_sel:DWORD dst_unused:UNUSED_PAD src0_sel:WORD_0 src1_sel:DWORD
	v_or_b32_e32 v6, v6, v51
	v_or_b32_e32 v21, v21, v50
	v_lshl_add_u32 v50, v4, 3, 0
	v_mul_f32_e32 v4, v9, v25
	v_mul_lo_u16 v49, v23, 48
	v_lshl_add_u32 v51, v6, 3, 0
	v_mul_f32_e32 v6, v9, v24
	v_mul_f32_e32 v9, v11, v42
	;; [unrolled: 1-line block ×3, first 2 shown]
	v_fma_f32 v24, v8, v24, -v4
	v_mul_f32_e32 v4, v48, v13
	v_fmac_f32_e32 v6, v8, v25
	v_mul_f32_e32 v8, v13, v47
	v_fma_f32 v9, v10, v41, -v9
	v_fmac_f32_e32 v11, v10, v42
	v_mul_f32_e32 v10, v44, v15
	v_mul_f32_e32 v13, v43, v15
	v_mul_f32_e32 v25, v46, v19
	v_mul_f32_e32 v19, v45, v19
	v_mul_f32_e32 v15, v40, v17
	v_mul_f32_e32 v17, v39, v17
	v_fma_f32 v10, v43, v14, -v10
	v_fmac_f32_e32 v13, v44, v14
	v_fma_f32 v14, v45, v18, -v25
	v_fmac_f32_e32 v19, v46, v18
	v_add_f32_e32 v18, v27, v5
	v_fma_f32 v41, v12, v47, -v4
	v_fmac_f32_e32 v8, v48, v12
	v_fma_f32 v12, v39, v16, -v15
	v_fmac_f32_e32 v17, v40, v16
	v_add_f32_e32 v15, v20, v22
	v_add_f32_e32 v25, v5, v7
	;; [unrolled: 1-line block ×3, first 2 shown]
	v_sub_f32_e32 v16, v5, v7
	v_add_f32_e32 v5, v18, v7
	v_add_f32_e32 v18, v24, v9
	;; [unrolled: 1-line block ×5, first 2 shown]
	v_sub_f32_e32 v20, v20, v22
	v_fma_f32 v26, -0.5, v15, v26
	v_fmac_f32_e32 v27, -0.5, v25
	v_add_f32_e32 v47, v12, v14
	v_sub_f32_e32 v48, v17, v19
	v_add_f32_e32 v56, v38, v17
	v_add_f32_e32 v17, v17, v19
	;; [unrolled: 1-line block ×4, first 2 shown]
	v_sub_f32_e32 v22, v6, v11
	v_add_f32_e32 v25, v29, v6
	v_sub_f32_e32 v24, v24, v9
	v_add_f32_e32 v46, v37, v12
	v_fma_f32 v28, -0.5, v18, v28
	v_fmac_f32_e32 v29, -0.5, v39
	v_add_f32_e32 v40, v30, v41
	v_sub_f32_e32 v43, v8, v13
	v_add_f32_e32 v44, v31, v8
	v_sub_f32_e32 v41, v41, v10
	v_fma_f32 v30, -0.5, v42, v30
	v_fmac_f32_e32 v31, -0.5, v45
	v_sub_f32_e32 v57, v12, v14
	v_fmamk_f32 v6, v16, 0x3f5db3d7, v26
	v_fmamk_f32 v7, v20, 0xbf5db3d7, v27
	v_fma_f32 v37, -0.5, v47, v37
	v_fmac_f32_e32 v38, -0.5, v17
	v_fmac_f32_e32 v26, 0xbf5db3d7, v16
	v_fmac_f32_e32 v27, 0x3f5db3d7, v20
	v_add_f32_e32 v8, v15, v9
	v_add_f32_e32 v9, v25, v11
	;; [unrolled: 1-line block ×3, first 2 shown]
	v_fmamk_f32 v14, v22, 0x3f5db3d7, v28
	v_fmamk_f32 v15, v24, 0xbf5db3d7, v29
	v_fmac_f32_e32 v28, 0xbf5db3d7, v22
	v_fmac_f32_e32 v29, 0x3f5db3d7, v24
	v_lshrrev_b32_e32 v52, 21, v54
	v_lshl_add_u32 v21, v21, 3, 0
	v_add_f32_e32 v10, v40, v10
	v_add_f32_e32 v11, v44, v13
	v_fmamk_f32 v16, v43, 0x3f5db3d7, v30
	v_fmamk_f32 v17, v41, 0xbf5db3d7, v31
	v_lshrrev_b32_e32 v54, 21, v55
	v_sub_nc_u16 v49, v32, v49
	v_add_f32_e32 v13, v56, v19
	v_fmac_f32_e32 v30, 0xbf5db3d7, v43
	v_fmac_f32_e32 v31, 0x3f5db3d7, v41
	v_fmamk_f32 v18, v48, 0x3f5db3d7, v37
	v_fmac_f32_e32 v37, 0xbf5db3d7, v48
	v_fmamk_f32 v19, v57, 0xbf5db3d7, v38
	v_fmac_f32_e32 v38, 0x3f5db3d7, v57
	ds_write2_b64 v33, v[4:5], v[6:7] offset1:16
	ds_write_b64 v33, v[26:27] offset:256
	ds_write2_b64 v50, v[8:9], v[14:15] offset1:16
	ds_write_b64 v50, v[28:29] offset:256
	;; [unrolled: 2-line block ×4, first 2 shown]
	v_mul_u32_u24_sdwa v5, v2, v53 dst_sel:DWORD dst_unused:UNUSED_PAD src0_sel:WORD_0 src1_sel:DWORD
	v_mul_lo_u16 v4, v52, 48
	v_lshlrev_b32_sdwa v55, v1, v49 dst_sel:DWORD dst_unused:UNUSED_PAD src0_sel:DWORD src1_sel:WORD_0
	v_mul_lo_u16 v6, v54, 48
	s_waitcnt lgkmcnt(0)
	v_lshrrev_b32_e32 v26, 21, v5
	v_sub_nc_u16 v25, v0, v4
	s_barrier
	buffer_gl0_inv
	global_load_dwordx4 v[7:10], v55, s[8:9] offset:256
	v_sub_nc_u16 v27, v3, v6
	v_mul_lo_u16 v5, v26, 48
	v_lshlrev_b32_sdwa v4, v1, v25 dst_sel:DWORD dst_unused:UNUSED_PAD src0_sel:DWORD src1_sel:WORD_0
	v_mov_b32_e32 v31, 0xe38f
	v_mul_u32_u24_e32 v29, 0x480, v23
	v_lshlrev_b32_sdwa v6, v1, v27 dst_sel:DWORD dst_unused:UNUSED_PAD src0_sel:DWORD src1_sel:WORD_0
	v_sub_nc_u16 v28, v2, v5
	global_load_dwordx4 v[11:14], v4, s[8:9] offset:256
	ds_read_b64 v[23:24], v36 offset:20736
	v_mul_u32_u24_e32 v37, 0x480, v52
	global_load_dwordx4 v[15:18], v6, s[8:9] offset:256
	v_lshlrev_b32_sdwa v4, v1, v28 dst_sel:DWORD dst_unused:UNUSED_PAD src0_sel:DWORD src1_sel:WORD_0
	v_mov_b32_e32 v6, 3
	v_mul_u32_u24_e32 v38, 0x480, v54
	v_mul_u32_u24_e32 v43, 0x480, v26
	global_load_dwordx4 v[19:22], v4, s[8:9] offset:256
	v_mul_u32_u24_sdwa v4, v32, v31 dst_sel:DWORD dst_unused:UNUSED_PAD src0_sel:WORD_0 src1_sel:DWORD
	v_lshlrev_b32_sdwa v26, v6, v49 dst_sel:DWORD dst_unused:UNUSED_PAD src0_sel:DWORD src1_sel:WORD_0
	v_lshlrev_b32_sdwa v25, v6, v25 dst_sel:DWORD dst_unused:UNUSED_PAD src0_sel:DWORD src1_sel:WORD_0
	;; [unrolled: 1-line block ×4, first 2 shown]
	v_lshrrev_b32_e32 v33, 23, v4
	ds_read_b64 v[4:5], v36 offset:10368
	v_add3_u32 v47, 0, v29, v26
	v_add3_u32 v48, 0, v37, v25
	v_add3_u32 v49, 0, v38, v27
	v_mul_lo_u16 v30, 0x90, v33
	v_add3_u32 v43, 0, v43, v44
	v_mul_u32_u24_e32 v33, 0xd80, v33
	v_sub_nc_u16 v45, v32, v30
	ds_read_b64 v[25:26], v36 offset:12960
	ds_read_b64 v[27:28], v36 offset:15552
	;; [unrolled: 1-line block ×6, first 2 shown]
	v_lshlrev_b32_sdwa v46, v1, v45 dst_sel:DWORD dst_unused:UNUSED_PAD src0_sel:DWORD src1_sel:WORD_0
	s_waitcnt vmcnt(3) lgkmcnt(6)
	v_mul_f32_e32 v50, v8, v5
	v_mul_f32_e32 v51, v8, v4
	;; [unrolled: 1-line block ×4, first 2 shown]
	v_fma_f32 v44, v7, v4, -v50
	v_fmac_f32_e32 v51, v7, v5
	v_fma_f32 v50, v9, v23, -v8
	v_fmac_f32_e32 v52, v9, v24
	ds_read_b64 v[4:5], v36
	ds_read_b64 v[7:8], v36 offset:2592
	ds_read_b64 v[9:10], v36 offset:5184
	;; [unrolled: 1-line block ×3, first 2 shown]
	s_waitcnt vmcnt(2) lgkmcnt(9)
	v_mul_f32_e32 v53, v12, v26
	v_mul_f32_e32 v12, v12, v25
	s_waitcnt lgkmcnt(6)
	v_mul_f32_e32 v54, v14, v38
	v_mul_f32_e32 v14, v14, v37
	s_waitcnt vmcnt(1)
	v_mul_f32_e32 v55, v16, v28
	v_fma_f32 v25, v11, v25, -v53
	v_fmac_f32_e32 v12, v11, v26
	v_mul_f32_e32 v11, v16, v27
	s_waitcnt lgkmcnt(5)
	v_mul_f32_e32 v16, v40, v18
	v_mul_f32_e32 v18, v39, v18
	v_fma_f32 v26, v13, v37, -v54
	v_fmac_f32_e32 v14, v13, v38
	s_waitcnt vmcnt(0)
	v_mul_f32_e32 v13, v30, v20
	v_mul_f32_e32 v20, v29, v20
	s_waitcnt lgkmcnt(4)
	v_mul_f32_e32 v37, v42, v22
	v_mul_f32_e32 v22, v41, v22
	v_fma_f32 v27, v15, v27, -v55
	v_fmac_f32_e32 v11, v15, v28
	v_fma_f32 v15, v39, v17, -v16
	v_fmac_f32_e32 v18, v40, v17
	v_fma_f32 v13, v29, v19, -v13
	v_fmac_f32_e32 v20, v30, v19
	v_fma_f32 v17, v41, v21, -v37
	v_fmac_f32_e32 v22, v42, v21
	v_add_f32_e32 v19, v44, v50
	v_add_f32_e32 v29, v51, v52
	;; [unrolled: 1-line block ×4, first 2 shown]
	s_waitcnt lgkmcnt(3)
	v_add_f32_e32 v16, v4, v44
	v_sub_f32_e32 v30, v44, v50
	v_add_f32_e32 v44, v27, v15
	v_add_f32_e32 v54, v11, v18
	v_sub_f32_e32 v21, v51, v52
	v_add_f32_e32 v28, v5, v51
	v_add_f32_e32 v56, v13, v17
	v_sub_f32_e32 v57, v20, v22
	s_waitcnt lgkmcnt(0)
	v_add_f32_e32 v58, v24, v20
	v_add_f32_e32 v20, v20, v22
	v_fma_f32 v4, -0.5, v19, v4
	v_fmac_f32_e32 v5, -0.5, v29
	v_add_f32_e32 v37, v7, v25
	v_sub_f32_e32 v39, v12, v14
	v_add_f32_e32 v40, v8, v12
	v_sub_f32_e32 v25, v25, v26
	v_add_f32_e32 v53, v10, v11
	v_fma_f32 v7, -0.5, v38, v7
	v_fmac_f32_e32 v8, -0.5, v41
	v_add_f32_e32 v42, v9, v27
	v_sub_f32_e32 v51, v11, v18
	v_sub_f32_e32 v27, v27, v15
	v_fma_f32 v9, -0.5, v44, v9
	v_fmac_f32_e32 v10, -0.5, v54
	v_add_f32_e32 v55, v23, v13
	v_sub_f32_e32 v59, v13, v17
	v_add_f32_e32 v11, v16, v50
	v_add_f32_e32 v12, v28, v52
	v_fma_f32 v23, -0.5, v56, v23
	v_fmac_f32_e32 v24, -0.5, v20
	v_fmamk_f32 v19, v21, 0x3f5db3d7, v4
	v_fmamk_f32 v20, v30, 0xbf5db3d7, v5
	v_fmac_f32_e32 v4, 0xbf5db3d7, v21
	v_fmac_f32_e32 v5, 0x3f5db3d7, v30
	v_add_f32_e32 v13, v37, v26
	v_add_f32_e32 v14, v40, v14
	;; [unrolled: 1-line block ×4, first 2 shown]
	v_fmamk_f32 v21, v39, 0x3f5db3d7, v7
	v_fmamk_f32 v22, v25, 0xbf5db3d7, v8
	v_fmac_f32_e32 v7, 0xbf5db3d7, v39
	v_fmac_f32_e32 v8, 0x3f5db3d7, v25
	v_add_f32_e32 v15, v42, v15
	v_fmamk_f32 v25, v51, 0x3f5db3d7, v9
	v_fmamk_f32 v26, v27, 0xbf5db3d7, v10
	s_barrier
	buffer_gl0_inv
	v_add_f32_e32 v17, v55, v17
	v_fmac_f32_e32 v9, 0xbf5db3d7, v51
	v_fmac_f32_e32 v10, 0x3f5db3d7, v27
	v_fmamk_f32 v27, v57, 0x3f5db3d7, v23
	v_fmac_f32_e32 v23, 0xbf5db3d7, v57
	v_fmamk_f32 v28, v59, 0xbf5db3d7, v24
	v_fmac_f32_e32 v24, 0x3f5db3d7, v59
	ds_write2_b64 v47, v[11:12], v[19:20] offset1:48
	ds_write_b64 v47, v[4:5] offset:768
	ds_write2_b64 v48, v[13:14], v[21:22] offset1:48
	ds_write_b64 v48, v[7:8] offset:768
	;; [unrolled: 2-line block ×4, first 2 shown]
	v_mul_u32_u24_sdwa v4, v0, v31 dst_sel:DWORD dst_unused:UNUSED_PAD src0_sel:WORD_0 src1_sel:DWORD
	s_waitcnt lgkmcnt(0)
	s_barrier
	buffer_gl0_inv
	global_load_dwordx4 v[7:10], v46, s[8:9] offset:1024
	v_lshrrev_b32_e32 v46, 23, v4
	v_mul_u32_u24_sdwa v4, v3, v31 dst_sel:DWORD dst_unused:UNUSED_PAD src0_sel:WORD_0 src1_sel:DWORD
	v_add_nc_u32_e32 v27, 0xffffff94, v32
	ds_read_b64 v[23:24], v36 offset:10368
	v_mov_b32_e32 v29, 0x12f7
	v_mul_lo_u16 v5, 0x90, v46
	v_lshrrev_b32_e32 v47, 23, v4
	v_cndmask_b32_e64 v51, v27, v0, s0
	ds_read_b64 v[27:28], v36 offset:20736
	v_lshrrev_b16 v30, 4, v3
	v_sub_nc_u16 v48, v0, v5
	v_mul_lo_u16 v4, 0x90, v47
	v_lshrrev_b16 v37, 4, v2
	v_mul_u32_u24_e32 v46, 0xd80, v46
	v_mul_u32_u24_sdwa v52, v30, v29 dst_sel:DWORD dst_unused:UNUSED_PAD src0_sel:WORD_0 src1_sel:DWORD
	v_lshlrev_b32_sdwa v5, v1, v48 dst_sel:DWORD dst_unused:UNUSED_PAD src0_sel:DWORD src1_sel:WORD_0
	v_sub_nc_u16 v49, v3, v4
	v_mul_u32_u24_sdwa v4, v2, v31 dst_sel:DWORD dst_unused:UNUSED_PAD src0_sel:WORD_0 src1_sel:DWORD
	v_mul_u32_u24_sdwa v53, v37, v29 dst_sel:DWORD dst_unused:UNUSED_PAD src0_sel:WORD_0 src1_sel:DWORD
	v_lshrrev_b32_e32 v52, 17, v52
	global_load_dwordx4 v[11:14], v5, s[8:9] offset:1024
	v_mul_u32_u24_e32 v47, 0xd80, v47
	v_lshrrev_b32_e32 v31, 23, v4
	v_mul_lo_u16 v4, 0x90, v31
	v_mul_u32_u24_e32 v31, 0xd80, v31
	v_sub_nc_u16 v50, v2, v4
	v_lshlrev_b32_sdwa v4, v1, v50 dst_sel:DWORD dst_unused:UNUSED_PAD src0_sel:DWORD src1_sel:WORD_0
	global_load_dwordx4 v[19:22], v4, s[8:9] offset:1024
	v_lshlrev_b32_sdwa v5, v1, v49 dst_sel:DWORD dst_unused:UNUSED_PAD src0_sel:DWORD src1_sel:WORD_0
	v_lshlrev_b32_e32 v4, 1, v32
	global_load_dwordx4 v[15:18], v5, s[8:9] offset:1024
	v_mov_b32_e32 v5, 0
	v_lshlrev_b64 v[25:26], 3, v[4:5]
	v_lshlrev_b32_e32 v4, 1, v51
	v_add_co_u32 v54, s0, s8, v25
	v_add_co_ci_u32_e64 v55, s0, s9, v26, s0
	ds_read_b64 v[25:26], v36 offset:12960
	ds_read_b64 v[29:30], v36 offset:15552
	;; [unrolled: 1-line block ×6, first 2 shown]
	s_waitcnt vmcnt(3) lgkmcnt(7)
	v_mul_f32_e32 v56, v8, v24
	v_mul_f32_e32 v57, v8, v23
	s_waitcnt lgkmcnt(6)
	v_mul_f32_e32 v58, v10, v27
	v_fma_f32 v56, v7, v23, -v56
	v_fmac_f32_e32 v57, v7, v24
	v_mul_f32_e32 v7, v10, v28
	v_fmac_f32_e32 v58, v9, v28
	v_mul_lo_u16 v23, 0x1b0, v52
	v_lshlrev_b32_sdwa v28, v6, v45 dst_sel:DWORD dst_unused:UNUSED_PAD src0_sel:DWORD src1_sel:WORD_0
	v_lshlrev_b32_sdwa v45, v6, v48 dst_sel:DWORD dst_unused:UNUSED_PAD src0_sel:DWORD src1_sel:WORD_0
	v_fma_f32 v27, v9, v27, -v7
	v_lshlrev_b64 v[7:8], 3, v[4:5]
	v_add_co_u32 v9, s0, 0x800, v54
	v_add_co_ci_u32_e64 v10, s0, 0, v55, s0
	v_lshlrev_b32_sdwa v48, v6, v49 dst_sel:DWORD dst_unused:UNUSED_PAD src0_sel:DWORD src1_sel:WORD_0
	v_add_co_u32 v7, s0, s8, v7
	v_add_co_ci_u32_e64 v8, s0, s9, v8, s0
	v_lshlrev_b32_sdwa v49, v6, v50 dst_sel:DWORD dst_unused:UNUSED_PAD src0_sel:DWORD src1_sel:WORD_0
	v_sub_nc_u16 v50, v3, v23
	v_add_co_u32 v23, s0, 0x800, v7
	v_add3_u32 v33, 0, v33, v28
	s_waitcnt vmcnt(2) lgkmcnt(5)
	v_mul_f32_e32 v7, v12, v26
	v_mul_f32_e32 v28, v12, v25
	v_add_co_ci_u32_e64 v24, s0, 0, v8, s0
	s_waitcnt lgkmcnt(2)
	v_mul_f32_e32 v8, v14, v40
	v_add3_u32 v45, 0, v46, v45
	v_add3_u32 v46, 0, v47, v48
	v_mul_f32_e32 v47, v14, v39
	v_fma_f32 v25, v11, v25, -v7
	v_fmac_f32_e32 v28, v11, v26
	v_fma_f32 v39, v13, v39, -v8
	ds_read_b64 v[7:8], v36
	v_fmac_f32_e32 v47, v13, v40
	v_lshrrev_b32_e32 v4, 17, v53
	v_add3_u32 v31, 0, v31, v49
	v_add_f32_e32 v48, v25, v39
	v_sub_f32_e32 v53, v25, v39
	v_sub_f32_e32 v49, v28, v47
	v_mul_lo_u16 v4, 0x1b0, v4
	v_lshlrev_b32_sdwa v1, v1, v50 dst_sel:DWORD dst_unused:UNUSED_PAD src0_sel:DWORD src1_sel:WORD_0
	v_lshlrev_b32_sdwa v6, v6, v50 dst_sel:DWORD dst_unused:UNUSED_PAD src0_sel:DWORD src1_sel:WORD_0
	s_waitcnt vmcnt(0)
	v_mul_f32_e32 v11, v16, v30
	v_mul_f32_e32 v26, v16, v29
	s_waitcnt lgkmcnt(2)
	v_mul_f32_e32 v12, v42, v18
	v_mul_f32_e32 v40, v41, v18
	s_waitcnt lgkmcnt(1)
	v_mul_f32_e32 v18, v44, v22
	v_fma_f32 v29, v15, v29, -v11
	v_fmac_f32_e32 v26, v15, v30
	v_fma_f32 v30, v41, v17, -v12
	ds_read_b64 v[11:12], v36 offset:2592
	ds_read_b64 v[13:14], v36 offset:5184
	;; [unrolled: 1-line block ×3, first 2 shown]
	v_fmac_f32_e32 v40, v42, v17
	v_mul_f32_e32 v17, v38, v20
	v_mul_f32_e32 v41, v37, v20
	;; [unrolled: 1-line block ×3, first 2 shown]
	v_sub_nc_u16 v4, v2, v4
	s_waitcnt lgkmcnt(0)
	v_fma_f32 v22, v37, v19, -v17
	v_fmac_f32_e32 v41, v38, v19
	v_add_f32_e32 v17, v7, v56
	v_fma_f32 v37, v43, v21, -v18
	v_fmac_f32_e32 v42, v44, v21
	v_add_f32_e32 v21, v56, v27
	v_add_f32_e32 v43, v57, v58
	v_sub_f32_e32 v44, v56, v27
	v_add_f32_e32 v17, v17, v27
	v_add_f32_e32 v27, v29, v30
	v_sub_f32_e32 v56, v26, v40
	v_add_f32_e32 v19, v11, v25
	v_add_f32_e32 v20, v12, v28
	v_add_f32_e32 v28, v28, v47
	v_sub_f32_e32 v38, v57, v58
	v_add_f32_e32 v18, v8, v57
	v_add_f32_e32 v19, v19, v39
	;; [unrolled: 1-line block ×4, first 2 shown]
	v_fma_f32 v7, -0.5, v21, v7
	v_add_f32_e32 v57, v22, v37
	v_fmac_f32_e32 v8, -0.5, v43
	v_sub_f32_e32 v43, v41, v42
	v_fma_f32 v11, -0.5, v48, v11
	v_add_f32_e32 v48, v16, v41
	v_add_f32_e32 v41, v41, v42
	;; [unrolled: 1-line block ×4, first 2 shown]
	v_sub_f32_e32 v47, v29, v30
	v_add_f32_e32 v29, v15, v22
	v_fmac_f32_e32 v12, -0.5, v28
	v_fma_f32 v13, -0.5, v27, v13
	v_fmac_f32_e32 v14, -0.5, v26
	v_add_f32_e32 v18, v18, v58
	v_sub_f32_e32 v58, v22, v37
	v_fma_f32 v15, -0.5, v57, v15
	v_fmac_f32_e32 v16, -0.5, v41
	v_fmamk_f32 v27, v38, 0x3f5db3d7, v7
	v_fmamk_f32 v28, v44, 0xbf5db3d7, v8
	v_fmac_f32_e32 v7, 0xbf5db3d7, v38
	v_fmac_f32_e32 v8, 0x3f5db3d7, v44
	v_add_f32_e32 v21, v25, v30
	v_add_f32_e32 v25, v29, v37
	v_fmamk_f32 v29, v49, 0x3f5db3d7, v11
	v_fmamk_f32 v30, v53, 0xbf5db3d7, v12
	v_fmac_f32_e32 v11, 0xbf5db3d7, v49
	v_fmac_f32_e32 v12, 0x3f5db3d7, v53
	v_add_f32_e32 v22, v39, v40
	v_fmamk_f32 v37, v56, 0x3f5db3d7, v13
	v_fmamk_f32 v38, v47, 0xbf5db3d7, v14
	s_barrier
	buffer_gl0_inv
	v_add_f32_e32 v26, v48, v42
	v_fmac_f32_e32 v13, 0xbf5db3d7, v56
	v_fmac_f32_e32 v14, 0x3f5db3d7, v47
	v_fmamk_f32 v39, v43, 0x3f5db3d7, v15
	v_fmac_f32_e32 v15, 0xbf5db3d7, v43
	v_fmamk_f32 v40, v58, 0xbf5db3d7, v16
	v_fmac_f32_e32 v16, 0x3f5db3d7, v58
	ds_write2_b64 v33, v[17:18], v[27:28] offset1:144
	ds_write_b64 v33, v[7:8] offset:2304
	ds_write2_b64 v45, v[19:20], v[29:30] offset1:144
	ds_write_b64 v45, v[11:12] offset:2304
	;; [unrolled: 2-line block ×4, first 2 shown]
	v_and_b32_e32 v31, 0xffff, v4
	v_add_co_u32 v1, s0, s8, v1
	s_waitcnt lgkmcnt(0)
	s_barrier
	v_lshlrev_b32_e32 v4, 4, v31
	buffer_gl0_inv
	s_clause 0x1
	global_load_dwordx4 v[7:10], v[9:10], off offset:1280
	global_load_dwordx4 v[11:14], v[23:24], off offset:1280
	v_add_co_ci_u32_e64 v16, null, s9, 0, s0
	v_add_co_u32 v4, s0, s8, v4
	v_add_co_ci_u32_e64 v17, null, s9, 0, s0
	v_add_co_u32 v15, s0, 0x800, v1
	v_add_co_ci_u32_e64 v16, s0, 0, v16, s0
	v_add_co_u32 v19, s0, 0x800, v4
	v_add_co_ci_u32_e64 v20, s0, 0, v17, s0
	s_clause 0x1
	global_load_dwordx4 v[15:18], v[15:16], off offset:1280
	global_load_dwordx4 v[19:22], v[19:20], off offset:1280
	v_cmp_lt_u32_e64 s0, 0x6b, v32
	v_lshlrev_b32_e32 v23, 3, v51
	v_lshlrev_b32_e32 v4, 1, v0
	ds_read_b64 v[29:30], v36 offset:20736
	ds_read_b64 v[39:40], v36 offset:12960
	v_cndmask_b32_e64 v1, 0, 0x2880, s0
	v_add_co_u32 v25, s0, 0x2800, v54
	v_add_co_ci_u32_e64 v26, s0, 0, v55, s0
	v_add3_u32 v1, 0, v1, v23
	v_lshlrev_b64 v[23:24], 3, v[4:5]
	v_lshlrev_b32_e32 v4, 1, v3
	v_mul_u32_u24_e32 v33, 0x2880, v52
	v_lshl_add_u32 v31, v31, 3, 0
	v_add_co_u32 v41, s0, s8, v23
	v_add_co_ci_u32_e64 v42, s0, s9, v24, s0
	ds_read_b64 v[23:24], v36 offset:10368
	v_lshlrev_b64 v[27:28], 3, v[4:5]
	v_lshlrev_b32_e32 v4, 1, v2
	v_add_co_u32 v41, s0, 0x2800, v41
	v_add_co_ci_u32_e64 v42, s0, 0, v42, s0
	v_lshlrev_b64 v[37:38], 3, v[4:5]
	v_add_co_u32 v4, s0, s8, v27
	v_add_co_ci_u32_e64 v51, s0, s9, v28, s0
	ds_read_b64 v[27:28], v36 offset:23328
	ds_read_b64 v[43:44], v36 offset:15552
	;; [unrolled: 1-line block ×5, first 2 shown]
	v_add3_u32 v33, 0, v33, v6
	s_waitcnt vmcnt(3) lgkmcnt(5)
	v_mul_f32_e32 v6, v8, v24
	v_mul_f32_e32 v52, v8, v23
	;; [unrolled: 1-line block ×4, first 2 shown]
	s_waitcnt vmcnt(2)
	v_mul_f32_e32 v10, v12, v40
	v_mul_f32_e32 v12, v12, v39
	v_fma_f32 v54, v7, v23, -v6
	v_fmac_f32_e32 v52, v7, v24
	v_fma_f32 v55, v9, v29, -v8
	v_fmac_f32_e32 v53, v9, v30
	ds_read_b64 v[6:7], v36
	ds_read_b64 v[8:9], v36 offset:2592
	ds_read_b64 v[23:24], v36 offset:5184
	;; [unrolled: 1-line block ×3, first 2 shown]
	v_fma_f32 v10, v11, v39, -v10
	v_fmac_f32_e32 v12, v11, v40
	s_waitcnt lgkmcnt(8)
	v_mul_f32_e32 v11, v14, v28
	v_mul_f32_e32 v14, v14, v27
	v_add_f32_e32 v40, v52, v53
	s_waitcnt vmcnt(0) lgkmcnt(0)
	s_barrier
	v_fma_f32 v27, v13, v27, -v11
	v_fmac_f32_e32 v14, v13, v28
	v_mul_f32_e32 v11, v16, v44
	v_mul_f32_e32 v13, v16, v43
	v_mul_f32_e32 v16, v48, v18
	v_mul_f32_e32 v18, v47, v18
	v_mul_f32_e32 v28, v46, v20
	v_mul_f32_e32 v20, v45, v20
	v_fma_f32 v11, v15, v43, -v11
	v_fmac_f32_e32 v13, v15, v44
	v_mul_f32_e32 v15, v50, v22
	v_mul_f32_e32 v22, v49, v22
	v_fma_f32 v16, v47, v17, -v16
	v_fmac_f32_e32 v18, v48, v17
	v_fma_f32 v17, v45, v19, -v28
	v_fmac_f32_e32 v20, v46, v19
	;; [unrolled: 2-line block ×3, first 2 shown]
	v_add_f32_e32 v39, v7, v52
	v_add_f32_e32 v21, v54, v55
	;; [unrolled: 1-line block ×5, first 2 shown]
	v_sub_f32_e32 v28, v52, v53
	v_add_f32_e32 v50, v23, v11
	v_add_f32_e32 v52, v11, v16
	;; [unrolled: 1-line block ×3, first 2 shown]
	v_sub_f32_e32 v58, v11, v16
	v_add_f32_e32 v60, v17, v19
	v_add_f32_e32 v11, v39, v53
	v_sub_f32_e32 v53, v20, v22
	v_add_f32_e32 v39, v30, v20
	v_add_f32_e32 v20, v20, v22
	;; [unrolled: 3-line block ×3, first 2 shown]
	v_add_f32_e32 v59, v29, v17
	v_fma_f32 v6, -0.5, v21, v6
	v_fmac_f32_e32 v7, -0.5, v40
	v_add_f32_e32 v44, v8, v10
	v_sub_f32_e32 v46, v12, v14
	v_sub_f32_e32 v49, v10, v27
	v_fma_f32 v8, -0.5, v45, v8
	v_fmac_f32_e32 v9, -0.5, v48
	v_sub_f32_e32 v54, v13, v18
	v_add_f32_e32 v10, v15, v55
	v_sub_f32_e32 v55, v17, v19
	v_fma_f32 v23, -0.5, v52, v23
	v_fmac_f32_e32 v24, -0.5, v57
	v_fma_f32 v29, -0.5, v60, v29
	v_fmac_f32_e32 v30, -0.5, v20
	v_add_f32_e32 v13, v47, v14
	v_add_f32_e32 v14, v50, v16
	;; [unrolled: 1-line block ×4, first 2 shown]
	v_fmamk_f32 v18, v28, 0x3f5db3d7, v6
	v_fmamk_f32 v19, v43, 0xbf5db3d7, v7
	v_fmac_f32_e32 v6, 0xbf5db3d7, v28
	v_fmac_f32_e32 v7, 0x3f5db3d7, v43
	v_add_f32_e32 v12, v44, v27
	v_fmamk_f32 v20, v46, 0x3f5db3d7, v8
	v_fmamk_f32 v21, v49, 0xbf5db3d7, v9
	buffer_gl0_inv
	v_add_f32_e32 v17, v39, v22
	v_fmac_f32_e32 v8, 0xbf5db3d7, v46
	v_fmac_f32_e32 v9, 0x3f5db3d7, v49
	v_fmamk_f32 v27, v54, 0x3f5db3d7, v23
	v_fmac_f32_e32 v23, 0xbf5db3d7, v54
	v_fmamk_f32 v28, v58, 0xbf5db3d7, v24
	;; [unrolled: 2-line block ×4, first 2 shown]
	v_fmac_f32_e32 v30, 0x3f5db3d7, v55
	ds_write_b64 v36, v[10:11]
	ds_write_b64 v36, v[18:19] offset:3456
	ds_write_b64 v36, v[6:7] offset:6912
	ds_write_b64 v1, v[12:13]
	ds_write_b64 v1, v[20:21] offset:3456
	ds_write_b64 v1, v[8:9] offset:6912
	;; [unrolled: 3-line block ×3, first 2 shown]
	ds_write_b64 v31, v[16:17] offset:20736
	ds_write_b64 v31, v[39:40] offset:24192
	;; [unrolled: 1-line block ×3, first 2 shown]
	v_add_co_u32 v14, s0, 0x2800, v4
	v_add_co_ci_u32_e64 v15, s0, 0, v51, s0
	v_add_co_u32 v1, s0, s8, v37
	v_add_co_ci_u32_e64 v4, s0, s9, v38, s0
	s_waitcnt lgkmcnt(0)
	v_add_co_u32 v18, s0, 0x2800, v1
	s_barrier
	buffer_gl0_inv
	s_clause 0x1
	global_load_dwordx4 v[6:9], v[25:26], off
	global_load_dwordx4 v[10:13], v[41:42], off
	v_add_co_ci_u32_e64 v19, s0, 0, v4, s0
	s_clause 0x1
	global_load_dwordx4 v[14:17], v[14:15], off
	global_load_dwordx4 v[18:21], v[18:19], off
	ds_read_b64 v[22:23], v36 offset:10368
	ds_read_b64 v[24:25], v36 offset:20736
	;; [unrolled: 1-line block ×6, first 2 shown]
	ds_read_b64 v[39:40], v36
	ds_read_b64 v[41:42], v36 offset:2592
	ds_read_b64 v[43:44], v36 offset:5184
	;; [unrolled: 1-line block ×5, first 2 shown]
	s_waitcnt vmcnt(0) lgkmcnt(0)
	s_barrier
	buffer_gl0_inv
	v_mul_f32_e32 v1, v7, v23
	v_mul_f32_e32 v4, v7, v22
	;; [unrolled: 1-line block ×9, first 2 shown]
	v_fma_f32 v1, v6, v22, -v1
	v_fmac_f32_e32 v4, v6, v23
	v_mul_f32_e32 v6, v15, v30
	v_mul_f32_e32 v15, v38, v17
	v_fma_f32 v7, v8, v24, -v7
	v_fmac_f32_e32 v9, v8, v25
	v_mul_f32_e32 v17, v37, v17
	v_mul_f32_e32 v8, v48, v19
	;; [unrolled: 1-line block ×5, first 2 shown]
	v_fma_f32 v23, v10, v26, -v33
	v_fmac_f32_e32 v11, v10, v27
	v_fma_f32 v10, v12, v28, -v51
	v_fmac_f32_e32 v13, v12, v29
	;; [unrolled: 2-line block ×6, first 2 shown]
	v_add_f32_e32 v18, v1, v7
	v_sub_f32_e32 v20, v4, v9
	v_add_f32_e32 v22, v40, v4
	v_add_f32_e32 v4, v4, v9
	v_add_f32_e32 v16, v39, v1
	v_add_f32_e32 v25, v23, v10
	v_sub_f32_e32 v26, v11, v13
	v_add_f32_e32 v27, v42, v11
	v_add_f32_e32 v11, v11, v13
	v_add_f32_e32 v29, v12, v14
	v_add_f32_e32 v33, v6, v17
	v_add_f32_e32 v38, v8, v15
	v_sub_f32_e32 v47, v19, v21
	v_add_f32_e32 v48, v46, v19
	;; [unrolled: 6-line block ×3, first 2 shown]
	v_sub_f32_e32 v1, v1, v7
	v_fma_f32 v39, -0.5, v18, v39
	v_fmac_f32_e32 v40, -0.5, v4
	v_sub_f32_e32 v23, v23, v10
	v_sub_f32_e32 v30, v6, v17
	;; [unrolled: 1-line block ×3, first 2 shown]
	v_add_f32_e32 v6, v16, v7
	v_add_f32_e32 v7, v22, v9
	v_fma_f32 v41, -0.5, v25, v41
	v_fmac_f32_e32 v42, -0.5, v11
	v_fma_f32 v43, -0.5, v29, v43
	v_fmac_f32_e32 v44, -0.5, v33
	;; [unrolled: 2-line block ×3, first 2 shown]
	v_add_f32_e32 v8, v24, v10
	v_add_f32_e32 v9, v27, v13
	v_add_f32_e32 v10, v28, v14
	v_add_f32_e32 v11, v31, v17
	v_add_f32_e32 v12, v12, v15
	v_add_f32_e32 v13, v48, v21
	v_fmamk_f32 v14, v20, 0x3f5db3d7, v39
	v_fmamk_f32 v15, v1, 0xbf5db3d7, v40
	v_fmac_f32_e32 v39, 0xbf5db3d7, v20
	v_fmac_f32_e32 v40, 0x3f5db3d7, v1
	v_fmamk_f32 v16, v26, 0x3f5db3d7, v41
	v_fmac_f32_e32 v41, 0xbf5db3d7, v26
	v_fmamk_f32 v17, v23, 0xbf5db3d7, v42
	;; [unrolled: 2-line block ×6, first 2 shown]
	v_fmac_f32_e32 v46, 0x3f5db3d7, v49
	ds_write_b64 v36, v[6:7]
	ds_write_b64 v36, v[8:9] offset:2592
	ds_write_b64 v36, v[10:11] offset:5184
	;; [unrolled: 1-line block ×11, first 2 shown]
	s_waitcnt lgkmcnt(0)
	s_barrier
	buffer_gl0_inv
	ds_read_b64 v[8:9], v36
	v_lshlrev_b32_e32 v1, 3, v32
                                        ; implicit-def: $vgpr6
                                        ; implicit-def: $vgpr11
                                        ; implicit-def: $vgpr12
	v_sub_nc_u32_e32 v10, 0, v1
	v_cmpx_ne_u32_e32 0, v32
	s_xor_b32 s5, exec_lo, s5
	s_cbranch_execz .LBB0_15
; %bb.14:
	v_mov_b32_e32 v33, v5
	ds_read_b64 v[6:7], v10 offset:31104
	v_lshlrev_b64 v[4:5], 3, v[32:33]
	v_add_co_u32 v4, s0, s1, v4
	v_add_co_ci_u32_e64 v5, s0, s4, v5, s0
	global_load_dwordx2 v[4:5], v[4:5], off
	s_waitcnt lgkmcnt(0)
	v_sub_f32_e32 v1, v8, v6
	v_add_f32_e32 v11, v7, v9
	v_sub_f32_e32 v7, v9, v7
	v_add_f32_e32 v6, v6, v8
	v_mul_f32_e32 v1, 0.5, v1
	v_mul_f32_e32 v8, 0.5, v11
	;; [unrolled: 1-line block ×3, first 2 shown]
	s_waitcnt vmcnt(0)
	v_mul_f32_e32 v9, v5, v1
	v_fma_f32 v12, v8, v5, v7
	v_fma_f32 v5, v8, v5, -v7
	v_fma_f32 v11, 0.5, v6, v9
	v_fma_f32 v6, v6, 0.5, -v9
	v_fma_f32 v12, -v4, v1, v12
	v_fma_f32 v7, -v4, v1, v5
	v_fmac_f32_e32 v11, v4, v8
	v_fma_f32 v6, -v4, v8, v6
                                        ; implicit-def: $vgpr8_vgpr9
.LBB0_15:
	s_andn2_saveexec_b32 s0, s5
	s_cbranch_execz .LBB0_17
; %bb.16:
	v_mov_b32_e32 v12, 0
	s_waitcnt lgkmcnt(0)
	v_add_f32_e32 v11, v8, v9
	v_sub_f32_e32 v6, v8, v9
	v_mov_b32_e32 v7, 0
	ds_read_b32 v1, v12 offset:15556
	s_waitcnt lgkmcnt(0)
	v_xor_b32_e32 v1, 0x80000000, v1
	ds_write_b32 v12, v1 offset:15556
.LBB0_17:
	s_or_b32 exec_lo, exec_lo, s0
	v_mov_b32_e32 v1, 0
	v_lshlrev_b64 v[4:5], 3, v[0:1]
	v_add_nc_u32_e32 v0, 0x510, v32
	v_lshlrev_b64 v[13:14], 3, v[0:1]
	v_add_co_u32 v4, s0, s1, v4
	v_add_co_ci_u32_e64 v5, s0, s4, v5, s0
	v_add_nc_u32_e32 v0, 0x654, v32
	s_waitcnt lgkmcnt(0)
	global_load_dwordx2 v[8:9], v[4:5], off
	v_mov_b32_e32 v4, v1
	v_lshlrev_b64 v[15:16], 3, v[0:1]
	v_lshlrev_b64 v[3:4], 3, v[3:4]
	v_add_co_u32 v3, s0, s1, v3
	v_add_co_ci_u32_e64 v4, s0, s4, v4, s0
	global_load_dwordx2 v[4:5], v[3:4], off
	v_mov_b32_e32 v3, v1
	v_lshlrev_b64 v[2:3], 3, v[2:3]
	v_add_co_u32 v2, s0, s1, v2
	v_add_co_ci_u32_e64 v3, s0, s4, v3, s0
	v_add_co_u32 v13, s0, s1, v13
	v_add_co_ci_u32_e64 v14, s0, s4, v14, s0
	global_load_dwordx2 v[2:3], v[2:3], off
	v_add_co_u32 v15, s0, s1, v15
	global_load_dwordx2 v[13:14], v[13:14], off
	v_add_co_ci_u32_e64 v16, s0, s4, v16, s0
	global_load_dwordx2 v[15:16], v[15:16], off
	ds_write2_b32 v36, v11, v12 offset1:1
	ds_write_b64 v10, v[6:7] offset:31104
	ds_read_b64 v[6:7], v36 offset:2592
	ds_read_b64 v[11:12], v10 offset:28512
	s_waitcnt lgkmcnt(0)
	v_sub_f32_e32 v0, v6, v11
	v_add_f32_e32 v17, v7, v12
	v_sub_f32_e32 v7, v7, v12
	v_add_f32_e32 v6, v6, v11
	v_mul_f32_e32 v0, 0.5, v0
	v_mul_f32_e32 v12, 0.5, v17
	v_mul_f32_e32 v7, 0.5, v7
	s_waitcnt vmcnt(4)
	v_mul_f32_e32 v11, v9, v0
	v_fma_f32 v17, v12, v9, v7
	v_fma_f32 v7, v12, v9, -v7
	v_fma_f32 v9, 0.5, v6, v11
	v_fma_f32 v6, v6, 0.5, -v11
	v_add_nc_u32_e32 v11, 0x800, v36
	v_fma_f32 v17, -v8, v0, v17
	v_fma_f32 v7, -v8, v0, v7
	v_fmac_f32_e32 v9, v8, v12
	v_fma_f32 v6, -v8, v12, v6
	ds_write2_b32 v11, v9, v17 offset0:136 offset1:137
	ds_write_b64 v10, v[6:7] offset:28512
	ds_read_b64 v[6:7], v36 offset:5184
	ds_read_b64 v[8:9], v10 offset:25920
	s_waitcnt lgkmcnt(0)
	v_sub_f32_e32 v0, v6, v8
	v_add_f32_e32 v11, v7, v9
	v_sub_f32_e32 v7, v7, v9
	v_add_f32_e32 v6, v6, v8
	v_mul_f32_e32 v0, 0.5, v0
	v_mul_f32_e32 v9, 0.5, v11
	v_mul_f32_e32 v7, 0.5, v7
	s_waitcnt vmcnt(3)
	v_mul_f32_e32 v8, v5, v0
	v_fma_f32 v11, v9, v5, v7
	v_fma_f32 v5, v9, v5, -v7
	v_fma_f32 v7, 0.5, v6, v8
	v_fma_f32 v6, v6, 0.5, -v8
	v_add_nc_u32_e32 v8, 0x1400, v36
	v_fma_f32 v11, -v4, v0, v11
	v_fma_f32 v5, -v4, v0, v5
	v_fmac_f32_e32 v7, v4, v9
	v_fma_f32 v4, -v4, v9, v6
	ds_write2_b32 v8, v7, v11 offset0:16 offset1:17
	;; [unrolled: 23-line block ×5, first 2 shown]
	ds_write_b64 v10, v[2:3] offset:18144
	s_waitcnt lgkmcnt(0)
	s_barrier
	buffer_gl0_inv
	s_and_saveexec_b32 s0, vcc_lo
	s_cbranch_execz .LBB0_20
; %bb.18:
	v_mov_b32_e32 v33, v1
	ds_read_b64 v[2:3], v36
	ds_read_b64 v[4:5], v36 offset:2592
	ds_read_b64 v[6:7], v36 offset:5184
	v_add_co_u32 v0, vcc_lo, s2, v34
	v_add_co_ci_u32_e32 v1, vcc_lo, s3, v35, vcc_lo
	v_lshlrev_b64 v[8:9], 3, v[32:33]
	ds_read_b64 v[14:15], v36 offset:7776
	v_add_co_u32 v8, vcc_lo, v0, v8
	v_add_co_ci_u32_e32 v9, vcc_lo, v1, v9, vcc_lo
	v_add_co_u32 v10, vcc_lo, 0x800, v8
	v_add_co_ci_u32_e32 v11, vcc_lo, 0, v9, vcc_lo
	;; [unrolled: 2-line block ×3, first 2 shown]
	s_waitcnt lgkmcnt(3)
	global_store_dwordx2 v[8:9], v[2:3], off
	s_waitcnt lgkmcnt(2)
	global_store_dwordx2 v[10:11], v[4:5], off offset:544
	s_waitcnt lgkmcnt(1)
	global_store_dwordx2 v[12:13], v[6:7], off offset:1088
	ds_read_b64 v[4:5], v36 offset:10368
	ds_read_b64 v[6:7], v36 offset:12960
	;; [unrolled: 1-line block ×4, first 2 shown]
	v_add_co_u32 v2, vcc_lo, 0x1800, v8
	v_add_co_ci_u32_e32 v3, vcc_lo, 0, v9, vcc_lo
	v_add_co_u32 v16, vcc_lo, 0x2800, v8
	v_add_co_ci_u32_e32 v17, vcc_lo, 0, v9, vcc_lo
	;; [unrolled: 2-line block ×5, first 2 shown]
	s_waitcnt lgkmcnt(4)
	global_store_dwordx2 v[2:3], v[14:15], off offset:1632
	s_waitcnt lgkmcnt(3)
	global_store_dwordx2 v[16:17], v[4:5], off offset:128
	;; [unrolled: 2-line block ×5, first 2 shown]
	ds_read_b64 v[2:3], v36 offset:20736
	ds_read_b64 v[4:5], v36 offset:23328
	;; [unrolled: 1-line block ×4, first 2 shown]
	v_add_co_u32 v12, vcc_lo, 0x5000, v8
	v_add_co_ci_u32_e32 v13, vcc_lo, 0, v9, vcc_lo
	v_add_co_u32 v14, vcc_lo, 0x5800, v8
	v_add_co_ci_u32_e32 v15, vcc_lo, 0, v9, vcc_lo
	;; [unrolled: 2-line block ×4, first 2 shown]
	v_cmp_eq_u32_e32 vcc_lo, 0x143, v32
	s_waitcnt lgkmcnt(3)
	global_store_dwordx2 v[12:13], v[2:3], off offset:256
	s_waitcnt lgkmcnt(2)
	global_store_dwordx2 v[14:15], v[4:5], off offset:800
	;; [unrolled: 2-line block ×4, first 2 shown]
	s_and_b32 exec_lo, exec_lo, vcc_lo
	s_cbranch_execz .LBB0_20
; %bb.19:
	v_mov_b32_e32 v2, 0
	v_add_co_u32 v0, vcc_lo, 0x7800, v0
	v_add_co_ci_u32_e32 v1, vcc_lo, 0, v1, vcc_lo
	ds_read_b64 v[2:3], v2 offset:31104
	s_waitcnt lgkmcnt(0)
	global_store_dwordx2 v[0:1], v[2:3], off offset:384
.LBB0_20:
	s_endpgm
	.section	.rodata,"a",@progbits
	.p2align	6, 0x0
	.amdhsa_kernel fft_rtc_fwd_len3888_factors_16_3_3_3_3_3_wgs_324_tpt_324_halfLds_sp_ip_CI_unitstride_sbrr_R2C_dirReg
		.amdhsa_group_segment_fixed_size 0
		.amdhsa_private_segment_fixed_size 0
		.amdhsa_kernarg_size 88
		.amdhsa_user_sgpr_count 6
		.amdhsa_user_sgpr_private_segment_buffer 1
		.amdhsa_user_sgpr_dispatch_ptr 0
		.amdhsa_user_sgpr_queue_ptr 0
		.amdhsa_user_sgpr_kernarg_segment_ptr 1
		.amdhsa_user_sgpr_dispatch_id 0
		.amdhsa_user_sgpr_flat_scratch_init 0
		.amdhsa_user_sgpr_private_segment_size 0
		.amdhsa_wavefront_size32 1
		.amdhsa_uses_dynamic_stack 0
		.amdhsa_system_sgpr_private_segment_wavefront_offset 0
		.amdhsa_system_sgpr_workgroup_id_x 1
		.amdhsa_system_sgpr_workgroup_id_y 0
		.amdhsa_system_sgpr_workgroup_id_z 0
		.amdhsa_system_sgpr_workgroup_info 0
		.amdhsa_system_vgpr_workitem_id 0
		.amdhsa_next_free_vgpr 61
		.amdhsa_next_free_sgpr 21
		.amdhsa_reserve_vcc 1
		.amdhsa_reserve_flat_scratch 0
		.amdhsa_float_round_mode_32 0
		.amdhsa_float_round_mode_16_64 0
		.amdhsa_float_denorm_mode_32 3
		.amdhsa_float_denorm_mode_16_64 3
		.amdhsa_dx10_clamp 1
		.amdhsa_ieee_mode 1
		.amdhsa_fp16_overflow 0
		.amdhsa_workgroup_processor_mode 1
		.amdhsa_memory_ordered 1
		.amdhsa_forward_progress 0
		.amdhsa_shared_vgpr_count 0
		.amdhsa_exception_fp_ieee_invalid_op 0
		.amdhsa_exception_fp_denorm_src 0
		.amdhsa_exception_fp_ieee_div_zero 0
		.amdhsa_exception_fp_ieee_overflow 0
		.amdhsa_exception_fp_ieee_underflow 0
		.amdhsa_exception_fp_ieee_inexact 0
		.amdhsa_exception_int_div_zero 0
	.end_amdhsa_kernel
	.text
.Lfunc_end0:
	.size	fft_rtc_fwd_len3888_factors_16_3_3_3_3_3_wgs_324_tpt_324_halfLds_sp_ip_CI_unitstride_sbrr_R2C_dirReg, .Lfunc_end0-fft_rtc_fwd_len3888_factors_16_3_3_3_3_3_wgs_324_tpt_324_halfLds_sp_ip_CI_unitstride_sbrr_R2C_dirReg
                                        ; -- End function
	.section	.AMDGPU.csdata,"",@progbits
; Kernel info:
; codeLenInByte = 9428
; NumSgprs: 23
; NumVgprs: 61
; ScratchSize: 0
; MemoryBound: 0
; FloatMode: 240
; IeeeMode: 1
; LDSByteSize: 0 bytes/workgroup (compile time only)
; SGPRBlocks: 2
; VGPRBlocks: 7
; NumSGPRsForWavesPerEU: 23
; NumVGPRsForWavesPerEU: 61
; Occupancy: 14
; WaveLimiterHint : 1
; COMPUTE_PGM_RSRC2:SCRATCH_EN: 0
; COMPUTE_PGM_RSRC2:USER_SGPR: 6
; COMPUTE_PGM_RSRC2:TRAP_HANDLER: 0
; COMPUTE_PGM_RSRC2:TGID_X_EN: 1
; COMPUTE_PGM_RSRC2:TGID_Y_EN: 0
; COMPUTE_PGM_RSRC2:TGID_Z_EN: 0
; COMPUTE_PGM_RSRC2:TIDIG_COMP_CNT: 0
	.text
	.p2alignl 6, 3214868480
	.fill 48, 4, 3214868480
	.type	__hip_cuid_c9f9dc64982e02b6,@object ; @__hip_cuid_c9f9dc64982e02b6
	.section	.bss,"aw",@nobits
	.globl	__hip_cuid_c9f9dc64982e02b6
__hip_cuid_c9f9dc64982e02b6:
	.byte	0                               ; 0x0
	.size	__hip_cuid_c9f9dc64982e02b6, 1

	.ident	"AMD clang version 19.0.0git (https://github.com/RadeonOpenCompute/llvm-project roc-6.4.0 25133 c7fe45cf4b819c5991fe208aaa96edf142730f1d)"
	.section	".note.GNU-stack","",@progbits
	.addrsig
	.addrsig_sym __hip_cuid_c9f9dc64982e02b6
	.amdgpu_metadata
---
amdhsa.kernels:
  - .args:
      - .actual_access:  read_only
        .address_space:  global
        .offset:         0
        .size:           8
        .value_kind:     global_buffer
      - .offset:         8
        .size:           8
        .value_kind:     by_value
      - .actual_access:  read_only
        .address_space:  global
        .offset:         16
        .size:           8
        .value_kind:     global_buffer
      - .actual_access:  read_only
        .address_space:  global
        .offset:         24
        .size:           8
        .value_kind:     global_buffer
      - .offset:         32
        .size:           8
        .value_kind:     by_value
      - .actual_access:  read_only
        .address_space:  global
        .offset:         40
        .size:           8
        .value_kind:     global_buffer
      - .actual_access:  read_only
        .address_space:  global
        .offset:         48
        .size:           8
        .value_kind:     global_buffer
      - .offset:         56
        .size:           4
        .value_kind:     by_value
      - .actual_access:  read_only
        .address_space:  global
        .offset:         64
        .size:           8
        .value_kind:     global_buffer
      - .actual_access:  read_only
        .address_space:  global
        .offset:         72
        .size:           8
        .value_kind:     global_buffer
      - .address_space:  global
        .offset:         80
        .size:           8
        .value_kind:     global_buffer
    .group_segment_fixed_size: 0
    .kernarg_segment_align: 8
    .kernarg_segment_size: 88
    .language:       OpenCL C
    .language_version:
      - 2
      - 0
    .max_flat_workgroup_size: 324
    .name:           fft_rtc_fwd_len3888_factors_16_3_3_3_3_3_wgs_324_tpt_324_halfLds_sp_ip_CI_unitstride_sbrr_R2C_dirReg
    .private_segment_fixed_size: 0
    .sgpr_count:     23
    .sgpr_spill_count: 0
    .symbol:         fft_rtc_fwd_len3888_factors_16_3_3_3_3_3_wgs_324_tpt_324_halfLds_sp_ip_CI_unitstride_sbrr_R2C_dirReg.kd
    .uniform_work_group_size: 1
    .uses_dynamic_stack: false
    .vgpr_count:     61
    .vgpr_spill_count: 0
    .wavefront_size: 32
    .workgroup_processor_mode: 1
amdhsa.target:   amdgcn-amd-amdhsa--gfx1030
amdhsa.version:
  - 1
  - 2
...

	.end_amdgpu_metadata
